;; amdgpu-corpus repo=llvm/llvm-project kind=harvested arch=n/a opt=n/a
// NOTE: Assertions have been autogenerated by utils/update_mc_test_checks.py UTC_ARGS: --unique --sort --version 6
// RUN: llvm-mc -triple=amdgcn -mcpu=tonga -show-encoding %s | FileCheck -check-prefix=VI %s

buffer_wbinvl1_vol
// VI: buffer_wbinvl1_vol                      ; encoding: [0x00,0x00,0xfc,0xe0,0x00,0x00,0x00,0x00]
